;; amdgpu-corpus repo=ROCm/rocFFT kind=compiled arch=gfx906 opt=O3
	.text
	.amdgcn_target "amdgcn-amd-amdhsa--gfx906"
	.amdhsa_code_object_version 6
	.protected	fft_rtc_back_len104_factors_13_8_wgs_208_tpt_13_half_ip_CI_sbcc_twdbase6_3step ; -- Begin function fft_rtc_back_len104_factors_13_8_wgs_208_tpt_13_half_ip_CI_sbcc_twdbase6_3step
	.globl	fft_rtc_back_len104_factors_13_8_wgs_208_tpt_13_half_ip_CI_sbcc_twdbase6_3step
	.p2align	8
	.type	fft_rtc_back_len104_factors_13_8_wgs_208_tpt_13_half_ip_CI_sbcc_twdbase6_3step,@function
fft_rtc_back_len104_factors_13_8_wgs_208_tpt_13_half_ip_CI_sbcc_twdbase6_3step: ; @fft_rtc_back_len104_factors_13_8_wgs_208_tpt_13_half_ip_CI_sbcc_twdbase6_3step
; %bb.0:
	s_load_dwordx8 s[8:15], s[4:5], 0x8
	s_movk_i32 s0, 0xc0
	v_cmp_gt_u32_e32 vcc, s0, v0
	s_and_saveexec_b64 s[0:1], vcc
	s_cbranch_execz .LBB0_2
; %bb.1:
	v_lshlrev_b32_e32 v1, 2, v0
	s_waitcnt lgkmcnt(0)
	global_load_dword v2, v1, s[8:9]
	v_add_u32_e32 v1, 0, v1
	s_waitcnt vmcnt(0)
	ds_write_b32 v1, v2 offset:6656
.LBB0_2:
	s_or_b64 exec, exec, s[0:1]
	s_waitcnt lgkmcnt(0)
	s_load_dwordx2 s[20:21], s[12:13], 0x8
	s_mov_b32 s7, 0
	s_mov_b64 s[24:25], 0
	s_waitcnt lgkmcnt(0)
	s_add_u32 s0, s20, -1
	s_addc_u32 s1, s21, -1
	s_lshr_b64 s[0:1], s[0:1], 4
	s_add_u32 s22, s0, 1
	s_addc_u32 s23, s1, 0
	v_mov_b32_e32 v1, s22
	v_mov_b32_e32 v2, s23
	v_cmp_lt_u64_e32 vcc, s[6:7], v[1:2]
	s_cbranch_vccnz .LBB0_4
; %bb.3:
	v_cvt_f32_u32_e32 v1, s22
	s_sub_i32 s0, 0, s22
	s_mov_b32 s25, s7
	v_rcp_iflag_f32_e32 v1, v1
	v_mul_f32_e32 v1, 0x4f7ffffe, v1
	v_cvt_u32_f32_e32 v1, v1
	v_readfirstlane_b32 s1, v1
	s_mul_i32 s0, s0, s1
	s_mul_hi_u32 s0, s1, s0
	s_add_i32 s1, s1, s0
	s_mul_hi_u32 s0, s6, s1
	s_mul_i32 s2, s0, s22
	s_sub_i32 s2, s6, s2
	s_add_i32 s1, s0, 1
	s_sub_i32 s3, s2, s22
	s_cmp_ge_u32 s2, s22
	s_cselect_b32 s0, s1, s0
	s_cselect_b32 s2, s3, s2
	s_add_i32 s1, s0, 1
	s_cmp_ge_u32 s2, s22
	s_cselect_b32 s24, s1, s0
.LBB0_4:
	s_load_dwordx4 s[16:19], s[14:15], 0x0
	s_mul_i32 s0, s24, s23
	s_mul_hi_u32 s1, s24, s22
	s_add_i32 s1, s1, s0
	s_mul_i32 s0, s24, s22
	s_sub_u32 s0, s6, s0
	s_subb_u32 s1, 0, s1
	v_mov_b32_e32 v1, s0
	v_alignbit_b32 v1, s1, v1, 28
	s_waitcnt lgkmcnt(0)
	v_mul_lo_u32 v1, s18, v1
	s_load_dwordx2 s[2:3], s[4:5], 0x58
	s_load_dwordx2 s[8:9], s[4:5], 0x0
	s_lshl_b64 s[4:5], s[0:1], 4
	s_mul_hi_u32 s0, s18, s4
	v_add_u32_e32 v1, s0, v1
	s_mul_i32 s0, s19, s4
	v_add_u32_e32 v3, s0, v1
	v_cmp_lt_u64_e64 s[0:1], s[10:11], 3
	s_mul_i32 s26, s18, s4
	v_mov_b32_e32 v4, s26
	s_and_b64 vcc, exec, s[0:1]
	s_cbranch_vccnz .LBB0_13
; %bb.5:
	s_add_u32 s26, s14, 16
	s_addc_u32 s27, s15, 0
	s_add_u32 s12, s12, 16
	v_mov_b32_e32 v1, s10
	s_addc_u32 s13, s13, 0
	s_mov_b64 s[28:29], 2
	s_mov_b32 s30, 0
	v_mov_b32_e32 v2, s11
	s_branch .LBB0_7
.LBB0_6:                                ;   in Loop: Header=BB0_7 Depth=1
	s_mul_i32 s23, s34, s23
	s_mul_hi_u32 s31, s34, s22
	s_add_i32 s23, s31, s23
	s_mul_i32 s31, s35, s22
	s_add_i32 s23, s23, s31
	s_mul_i32 s31, s0, s35
	s_mul_hi_u32 s33, s0, s34
	s_load_dwordx2 s[36:37], s[26:27], 0x0
	s_add_i32 s31, s33, s31
	s_mul_i32 s33, s1, s34
	s_add_i32 s31, s31, s33
	s_mul_i32 s33, s0, s34
	s_sub_u32 s24, s24, s33
	s_subb_u32 s25, s25, s31
	s_waitcnt lgkmcnt(0)
	s_mul_i32 s25, s36, s25
	s_mul_hi_u32 s31, s36, s24
	s_add_i32 s25, s31, s25
	s_mul_i32 s31, s37, s24
	s_add_i32 s25, s25, s31
	s_mul_i32 s24, s36, s24
	s_add_u32 s28, s28, 1
	v_mov_b32_e32 v5, s25
	v_add_co_u32_e32 v4, vcc, s24, v4
	s_addc_u32 s29, s29, 0
	v_addc_co_u32_e32 v3, vcc, v5, v3, vcc
	s_add_u32 s26, s26, 8
	s_addc_u32 s27, s27, 0
	v_cmp_ge_u64_e32 vcc, s[28:29], v[1:2]
	s_add_u32 s12, s12, 8
	s_mul_i32 s22, s34, s22
	s_addc_u32 s13, s13, 0
	s_mov_b64 s[24:25], s[0:1]
	s_cbranch_vccnz .LBB0_11
.LBB0_7:                                ; =>This Inner Loop Header: Depth=1
	s_load_dwordx2 s[34:35], s[12:13], 0x0
	s_waitcnt lgkmcnt(0)
	s_or_b64 s[0:1], s[24:25], s[34:35]
	s_mov_b32 s31, s1
	s_cmp_lg_u64 s[30:31], 0
	s_cbranch_scc0 .LBB0_9
; %bb.8:                                ;   in Loop: Header=BB0_7 Depth=1
	v_cvt_f32_u32_e32 v5, s34
	v_cvt_f32_u32_e32 v6, s35
	s_sub_u32 s0, 0, s34
	s_subb_u32 s1, 0, s35
	v_mac_f32_e32 v5, 0x4f800000, v6
	v_rcp_f32_e32 v5, v5
	v_mul_f32_e32 v5, 0x5f7ffffc, v5
	v_mul_f32_e32 v6, 0x2f800000, v5
	v_trunc_f32_e32 v6, v6
	v_mac_f32_e32 v5, 0xcf800000, v6
	v_cvt_u32_f32_e32 v6, v6
	v_cvt_u32_f32_e32 v5, v5
	v_readfirstlane_b32 s31, v6
	v_readfirstlane_b32 s33, v5
	s_mul_i32 s36, s0, s31
	s_mul_hi_u32 s38, s0, s33
	s_mul_i32 s37, s1, s33
	s_add_i32 s36, s38, s36
	s_mul_i32 s39, s0, s33
	s_add_i32 s36, s36, s37
	s_mul_hi_u32 s37, s33, s36
	s_mul_i32 s38, s33, s36
	s_mul_hi_u32 s33, s33, s39
	s_add_u32 s33, s33, s38
	s_addc_u32 s37, 0, s37
	s_mul_hi_u32 s40, s31, s39
	s_mul_i32 s39, s31, s39
	s_add_u32 s33, s33, s39
	s_mul_hi_u32 s38, s31, s36
	s_addc_u32 s33, s37, s40
	s_addc_u32 s37, s38, 0
	s_mul_i32 s36, s31, s36
	s_add_u32 s33, s33, s36
	s_addc_u32 s36, 0, s37
	v_add_co_u32_e32 v5, vcc, s33, v5
	s_cmp_lg_u64 vcc, 0
	s_addc_u32 s31, s31, s36
	v_readfirstlane_b32 s36, v5
	s_mul_i32 s33, s0, s31
	s_mul_hi_u32 s37, s0, s36
	s_add_i32 s33, s37, s33
	s_mul_i32 s1, s1, s36
	s_add_i32 s33, s33, s1
	s_mul_i32 s0, s0, s36
	s_mul_hi_u32 s37, s31, s0
	s_mul_i32 s38, s31, s0
	s_mul_i32 s40, s36, s33
	s_mul_hi_u32 s0, s36, s0
	s_mul_hi_u32 s39, s36, s33
	s_add_u32 s0, s0, s40
	s_addc_u32 s36, 0, s39
	s_add_u32 s0, s0, s38
	s_mul_hi_u32 s1, s31, s33
	s_addc_u32 s0, s36, s37
	s_addc_u32 s1, s1, 0
	s_mul_i32 s33, s31, s33
	s_add_u32 s0, s0, s33
	s_addc_u32 s1, 0, s1
	v_add_co_u32_e32 v5, vcc, s0, v5
	s_cmp_lg_u64 vcc, 0
	s_addc_u32 s0, s31, s1
	v_readfirstlane_b32 s33, v5
	s_mul_i32 s31, s24, s0
	s_mul_hi_u32 s36, s24, s33
	s_mul_hi_u32 s1, s24, s0
	s_add_u32 s31, s36, s31
	s_addc_u32 s1, 0, s1
	s_mul_hi_u32 s37, s25, s33
	s_mul_i32 s33, s25, s33
	s_add_u32 s31, s31, s33
	s_mul_hi_u32 s36, s25, s0
	s_addc_u32 s1, s1, s37
	s_addc_u32 s31, s36, 0
	s_mul_i32 s0, s25, s0
	s_add_u32 s33, s1, s0
	s_addc_u32 s31, 0, s31
	s_mul_i32 s0, s34, s31
	s_mul_hi_u32 s1, s34, s33
	s_add_i32 s0, s1, s0
	s_mul_i32 s1, s35, s33
	s_add_i32 s36, s0, s1
	s_mul_i32 s1, s34, s33
	v_mov_b32_e32 v5, s1
	s_sub_i32 s0, s25, s36
	v_sub_co_u32_e32 v5, vcc, s24, v5
	s_cmp_lg_u64 vcc, 0
	s_subb_u32 s37, s0, s35
	v_subrev_co_u32_e64 v6, s[0:1], s34, v5
	s_cmp_lg_u64 s[0:1], 0
	s_subb_u32 s0, s37, 0
	s_cmp_ge_u32 s0, s35
	v_readfirstlane_b32 s37, v6
	s_cselect_b32 s1, -1, 0
	s_cmp_ge_u32 s37, s34
	s_cselect_b32 s37, -1, 0
	s_cmp_eq_u32 s0, s35
	s_cselect_b32 s0, s37, s1
	s_add_u32 s1, s33, 1
	s_addc_u32 s37, s31, 0
	s_add_u32 s38, s33, 2
	s_addc_u32 s39, s31, 0
	s_cmp_lg_u32 s0, 0
	s_cselect_b32 s0, s38, s1
	s_cselect_b32 s1, s39, s37
	s_cmp_lg_u64 vcc, 0
	s_subb_u32 s36, s25, s36
	s_cmp_ge_u32 s36, s35
	v_readfirstlane_b32 s38, v5
	s_cselect_b32 s37, -1, 0
	s_cmp_ge_u32 s38, s34
	s_cselect_b32 s38, -1, 0
	s_cmp_eq_u32 s36, s35
	s_cselect_b32 s36, s38, s37
	s_cmp_lg_u32 s36, 0
	s_cselect_b32 s1, s1, s31
	s_cselect_b32 s0, s0, s33
	s_cbranch_execnz .LBB0_6
	s_branch .LBB0_10
.LBB0_9:                                ;   in Loop: Header=BB0_7 Depth=1
                                        ; implicit-def: $sgpr0_sgpr1
.LBB0_10:                               ;   in Loop: Header=BB0_7 Depth=1
	v_cvt_f32_u32_e32 v5, s34
	s_sub_i32 s0, 0, s34
	v_rcp_iflag_f32_e32 v5, v5
	v_mul_f32_e32 v5, 0x4f7ffffe, v5
	v_cvt_u32_f32_e32 v5, v5
	v_readfirstlane_b32 s1, v5
	s_mul_i32 s0, s0, s1
	s_mul_hi_u32 s0, s1, s0
	s_add_i32 s1, s1, s0
	s_mul_hi_u32 s0, s24, s1
	s_mul_i32 s31, s0, s34
	s_sub_i32 s31, s24, s31
	s_add_i32 s1, s0, 1
	s_sub_i32 s33, s31, s34
	s_cmp_ge_u32 s31, s34
	s_cselect_b32 s0, s1, s0
	s_cselect_b32 s31, s33, s31
	s_add_i32 s1, s0, 1
	s_cmp_ge_u32 s31, s34
	s_cselect_b32 s0, s1, s0
	s_mov_b32 s1, s30
	s_branch .LBB0_6
.LBB0_11:
	v_mov_b32_e32 v1, s22
	v_mov_b32_e32 v2, s23
	v_cmp_lt_u64_e32 vcc, s[6:7], v[1:2]
	s_mov_b64 s[24:25], 0
	s_cbranch_vccnz .LBB0_13
; %bb.12:
	v_cvt_f32_u32_e32 v1, s22
	s_sub_i32 s0, 0, s22
	v_rcp_iflag_f32_e32 v1, v1
	v_mul_f32_e32 v1, 0x4f7ffffe, v1
	v_cvt_u32_f32_e32 v1, v1
	v_readfirstlane_b32 s1, v1
	s_mul_i32 s0, s0, s1
	s_mul_hi_u32 s0, s1, s0
	s_add_i32 s1, s1, s0
	s_mul_hi_u32 s0, s6, s1
	s_mul_i32 s7, s0, s22
	s_sub_i32 s6, s6, s7
	s_add_i32 s1, s0, 1
	s_sub_i32 s7, s6, s22
	s_cmp_ge_u32 s6, s22
	s_cselect_b32 s0, s1, s0
	s_cselect_b32 s6, s7, s6
	s_add_i32 s1, s0, 1
	s_cmp_ge_u32 s6, s22
	s_cselect_b32 s24, s1, s0
.LBB0_13:
	s_lshl_b64 s[0:1], s[10:11], 3
	s_add_u32 s0, s14, s0
	s_addc_u32 s1, s15, s1
	s_load_dwordx2 s[0:1], s[0:1], 0x0
	v_and_b32_e32 v20, 15, v0
	v_lshrrev_b32_e32 v15, 4, v0
	v_lshlrev_b32_e32 v21, 2, v15
	v_add_u32_e32 v19, 13, v15
	s_waitcnt lgkmcnt(0)
	s_mul_i32 s1, s1, s24
	s_mul_hi_u32 s6, s0, s24
	s_mul_i32 s0, s0, s24
	s_add_i32 s1, s6, s1
	v_mov_b32_e32 v2, s1
	v_add_co_u32_e32 v1, vcc, s0, v4
	v_addc_co_u32_e32 v2, vcc, v2, v3, vcc
	s_add_u32 s0, s4, 16
	v_mov_b32_e32 v3, s20
	s_addc_u32 s1, s5, 0
	v_mov_b32_e32 v4, s21
	v_cmp_le_u64_e32 vcc, s[0:1], v[3:4]
	v_or_b32_e32 v3, s4, v20
	v_mov_b32_e32 v4, s5
	v_cmp_gt_u64_e64 s[0:1], s[20:21], v[3:4]
	v_lshlrev_b64 v[1:2], 2, v[1:2]
	s_or_b64 s[0:1], vcc, s[0:1]
	v_add_u32_e32 v18, 26, v15
	v_add_u32_e32 v17, 39, v15
	;; [unrolled: 1-line block ×3, first 2 shown]
	s_and_saveexec_b64 s[6:7], s[0:1]
	s_cbranch_execz .LBB0_15
; %bb.14:
	v_mad_u64_u32 v[3:4], s[10:11], s18, v20, 0
	v_mad_u64_u32 v[5:6], s[10:11], s16, v15, 0
	;; [unrolled: 1-line block ×4, first 2 shown]
	v_mov_b32_e32 v4, v6
	v_mad_u64_u32 v[8:9], s[10:11], s17, v15, v[4:5]
	v_mov_b32_e32 v4, v7
	v_mov_b32_e32 v7, s3
	v_add_co_u32_e32 v9, vcc, s2, v1
	v_mov_b32_e32 v6, v8
	v_addc_co_u32_e32 v10, vcc, v7, v2, vcc
	v_mad_u64_u32 v[7:8], s[10:11], s16, v19, 0
	v_lshlrev_b64 v[3:4], 2, v[3:4]
	v_mad_u64_u32 v[13:14], s[10:11], s16, v16, 0
	v_add_co_u32_e32 v28, vcc, v9, v3
	v_addc_co_u32_e32 v29, vcc, v10, v4, vcc
	v_lshlrev_b64 v[3:4], 2, v[5:6]
	v_mov_b32_e32 v5, v8
	v_mad_u64_u32 v[5:6], s[10:11], s17, v19, v[5:6]
	v_mad_u64_u32 v[9:10], s[10:11], s16, v18, 0
	v_mov_b32_e32 v8, v5
	v_lshlrev_b64 v[5:6], 2, v[7:8]
	v_mov_b32_e32 v7, v10
	v_mad_u64_u32 v[7:8], s[10:11], s17, v18, v[7:8]
	v_add_u32_e32 v24, 0x41, v15
	v_mad_u64_u32 v[22:23], s[10:11], s16, v24, 0
	v_mov_b32_e32 v10, v7
	v_lshlrev_b64 v[7:8], 2, v[9:10]
	v_mov_b32_e32 v9, v12
	v_mad_u64_u32 v[9:10], s[10:11], s17, v17, v[9:10]
	v_add_u32_e32 v26, 0x4e, v15
	v_add_co_u32_e32 v3, vcc, v28, v3
	v_mov_b32_e32 v12, v9
	v_lshlrev_b64 v[9:10], 2, v[11:12]
	v_mov_b32_e32 v11, v14
	v_mad_u64_u32 v[11:12], s[10:11], s17, v16, v[11:12]
	v_addc_co_u32_e32 v4, vcc, v29, v4, vcc
	v_mov_b32_e32 v14, v11
	v_lshlrev_b64 v[11:12], 2, v[13:14]
	v_mov_b32_e32 v13, v23
	v_mad_u64_u32 v[13:14], s[10:11], s17, v24, v[13:14]
	v_mad_u64_u32 v[24:25], s[10:11], s16, v26, 0
	v_mov_b32_e32 v23, v13
	v_lshlrev_b64 v[13:14], 2, v[22:23]
	v_mov_b32_e32 v22, v25
	v_mad_u64_u32 v[22:23], s[10:11], s17, v26, v[22:23]
	v_add_u32_e32 v30, 0x5b, v15
	v_add_co_u32_e32 v5, vcc, v28, v5
	v_mad_u64_u32 v[26:27], s[10:11], s16, v30, 0
	v_addc_co_u32_e32 v6, vcc, v29, v6, vcc
	v_add_co_u32_e32 v7, vcc, v28, v7
	v_addc_co_u32_e32 v8, vcc, v29, v8, vcc
	v_mov_b32_e32 v25, v22
	v_add_co_u32_e32 v9, vcc, v28, v9
	v_lshlrev_b64 v[22:23], 2, v[24:25]
	v_mov_b32_e32 v24, v27
	v_addc_co_u32_e32 v10, vcc, v29, v10, vcc
	v_mad_u64_u32 v[24:25], s[10:11], s17, v30, v[24:25]
	v_add_co_u32_e32 v11, vcc, v28, v11
	v_addc_co_u32_e32 v12, vcc, v29, v12, vcc
	v_add_co_u32_e32 v13, vcc, v28, v13
	v_addc_co_u32_e32 v14, vcc, v29, v14, vcc
	v_mov_b32_e32 v27, v24
	v_add_co_u32_e32 v22, vcc, v28, v22
	v_lshlrev_b64 v[24:25], 2, v[26:27]
	v_addc_co_u32_e32 v23, vcc, v29, v23, vcc
	v_add_co_u32_e32 v24, vcc, v28, v24
	v_addc_co_u32_e32 v25, vcc, v29, v25, vcc
	global_load_dword v26, v[3:4], off
	global_load_dword v27, v[5:6], off
	;; [unrolled: 1-line block ×8, first 2 shown]
	v_mul_u32_u24_e32 v3, 0x1a0, v20
	v_add3_u32 v3, 0, v3, v21
	s_waitcnt vmcnt(6)
	ds_write2_b32 v3, v26, v27 offset1:13
	s_waitcnt vmcnt(4)
	ds_write2_b32 v3, v28, v29 offset0:26 offset1:39
	s_waitcnt vmcnt(2)
	ds_write2_b32 v3, v30, v31 offset0:52 offset1:65
	;; [unrolled: 2-line block ×3, first 2 shown]
.LBB0_15:
	s_or_b64 exec, exec, s[6:7]
	s_mov_b32 s5, 0x13b13b14
	v_mul_hi_u32 v22, v0, s5
	s_waitcnt lgkmcnt(0)
	s_barrier
	v_and_b32_e32 v3, 15, v22
	v_mul_u32_u24_e32 v4, 13, v22
	v_mul_u32_u24_e32 v3, 0x68, v3
	v_sub_u32_e32 v23, v0, v4
	v_lshlrev_b32_e32 v26, 2, v3
	v_lshlrev_b32_e32 v0, 2, v23
	v_add3_u32 v24, 0, v26, v0
	v_add_u32_e32 v27, 0, v0
	v_add_u32_e32 v0, v27, v26
	ds_read_b32 v25, v24
	ds_read2_b32 v[9:10], v0 offset0:8 offset1:16
	ds_read2_b32 v[7:8], v0 offset0:24 offset1:32
	;; [unrolled: 1-line block ×6, first 2 shown]
	v_cmp_gt_u32_e32 vcc, 8, v23
	s_waitcnt lgkmcnt(0)
	s_barrier
	s_and_saveexec_b64 s[6:7], vcc
	s_cbranch_execz .LBB0_17
; %bb.16:
	v_pk_add_f16 v28, v25, v9
	v_mul_i32_i24_e32 v29, 48, v23
	v_add3_u32 v26, v27, v29, v26
	v_pk_add_f16 v27, v28, v10
	v_pk_add_f16 v27, v27, v7
	;; [unrolled: 1-line block ×11, first 2 shown]
	v_pk_add_f16 v27, v9, v14 neg_lo:[0,1] neg_hi:[0,1]
	s_mov_b32 s25, 0xb770
	v_pk_add_f16 v28, v14, v9
	v_pk_add_f16 v14, v10, v13 neg_lo:[0,1] neg_hi:[0,1]
	v_pk_add_f16 v13, v13, v10
	v_pk_add_f16 v10, v7, v12 neg_lo:[0,1] neg_hi:[0,1]
	;; [unrolled: 2-line block ×4, first 2 shown]
	v_pk_add_f16 v4, v5, v4
	s_movk_i32 s14, 0x3b15
	s_mov_b32 s23, 0xba95
	v_pk_mul_f16 v5, v27, s25 op_sel_hi:[1,0]
	v_pk_add_f16 v9, v8, v11 neg_lo:[0,1] neg_hi:[0,1]
	v_pk_add_f16 v8, v11, v8
	s_movk_i32 s11, 0x388b
	v_pk_fma_f16 v11, v28, s14, v5 op_sel:[0,0,1] op_sel_hi:[1,0,0]
	v_pk_fma_f16 v5, v28, s14, v5 op_sel:[0,0,1] op_sel_hi:[1,0,0] neg_lo:[0,0,1] neg_hi:[0,0,1]
	s_mov_b32 s24, 0xffff
	v_pk_mul_f16 v31, v14, s23 op_sel_hi:[1,0]
	v_bfi_b32 v30, s24, v11, v5
	v_pk_fma_f16 v32, v13, s11, v31 op_sel:[0,0,1] op_sel_hi:[1,0,0]
	v_pk_fma_f16 v31, v13, s11, v31 op_sel:[0,0,1] op_sel_hi:[1,0,0] neg_lo:[0,0,1] neg_hi:[0,0,1]
	s_mov_b32 s22, 0xbbf1
	v_pk_add_f16 v30, v25, v30
	v_bfi_b32 v33, s24, v32, v31
	s_movk_i32 s5, 0x2fb7
	v_pk_add_f16 v30, v33, v30
	v_pk_mul_f16 v33, v10, s22 op_sel_hi:[1,0]
	v_pk_fma_f16 v34, v12, s5, v33 op_sel:[0,0,1] op_sel_hi:[1,0,0]
	v_pk_fma_f16 v33, v12, s5, v33 op_sel:[0,0,1] op_sel_hi:[1,0,0] neg_lo:[0,0,1] neg_hi:[0,0,1]
	s_mov_b32 s20, 0xbb7b
	v_bfi_b32 v35, s24, v34, v33
	s_mov_b32 s12, 0xb5ac
	v_pk_add_f16 v30, v35, v30
	v_pk_mul_f16 v35, v9, s20 op_sel_hi:[1,0]
	v_pk_fma_f16 v36, v8, s12, v35 op_sel:[0,0,1] op_sel_hi:[1,0,0]
	v_pk_fma_f16 v35, v8, s12, v35 op_sel:[0,0,1] op_sel_hi:[1,0,0] neg_lo:[0,0,1] neg_hi:[0,0,1]
	s_mov_b32 s15, 0xb94e
	v_bfi_b32 v37, s24, v36, v35
	s_mov_b32 s10, 0xb9fd
	;; [unrolled: 7-line block ×3, first 2 shown]
	v_pk_add_f16 v30, v39, v30
	v_pk_mul_f16 v39, v3, s13 op_sel_hi:[1,0]
	v_pk_fma_f16 v40, v4, s21, v39 op_sel:[0,0,1] op_sel_hi:[1,0,0]
	v_pk_fma_f16 v39, v4, s21, v39 op_sel:[0,0,1] op_sel_hi:[1,0,0] neg_lo:[0,0,1] neg_hi:[0,0,1]
	v_bfi_b32 v41, s24, v40, v39
	v_pk_add_f16 v30, v41, v30
	ds_write2_b32 v26, v29, v30 offset1:1
	s_movk_i32 s26, 0x3bf1
	v_mul_f16_sdwa v29, v28, s5 dst_sel:DWORD dst_unused:UNUSED_PAD src0_sel:WORD_1 src1_sel:DWORD
	s_movk_i32 s30, 0x33a8
	v_fma_f16 v30, v27, s26, v29
	v_mul_f16_sdwa v41, v13, s21 dst_sel:DWORD dst_unused:UNUSED_PAD src0_sel:WORD_1 src1_sel:DWORD
	v_add_f16_sdwa v30, v25, v30 dst_sel:DWORD dst_unused:UNUSED_PAD src0_sel:WORD_1 src1_sel:DWORD
	v_fma_f16 v42, v14, s30, v41
	v_add_f16_e32 v30, v42, v30
	v_mul_f16_sdwa v42, v12, s12 dst_sel:DWORD dst_unused:UNUSED_PAD src0_sel:WORD_1 src1_sel:DWORD
	v_fma_f16 v43, v10, s20, v42
	v_add_f16_e32 v30, v43, v30
	v_mul_f16_sdwa v43, v8, s14 dst_sel:DWORD dst_unused:UNUSED_PAD src0_sel:WORD_1 src1_sel:DWORD
	v_fma_f16 v44, v9, s25, v43
	v_add_f16_e32 v30, v44, v30
	s_movk_i32 s27, 0x3a95
	v_mul_f16_sdwa v44, v6, s11 dst_sel:DWORD dst_unused:UNUSED_PAD src0_sel:WORD_1 src1_sel:DWORD
	v_fma_f16 v45, v7, s27, v44
	v_add_f16_e32 v30, v45, v30
	s_movk_i32 s29, 0x394e
	v_mul_f16_sdwa v45, v4, s10 dst_sel:DWORD dst_unused:UNUSED_PAD src0_sel:WORD_1 src1_sel:DWORD
	v_fma_f16 v46, v3, s29, v45
	v_add_f16_e32 v30, v46, v30
	v_mul_f16_sdwa v46, v27, s22 dst_sel:DWORD dst_unused:UNUSED_PAD src0_sel:WORD_1 src1_sel:DWORD
	v_fma_f16 v47, v28, s5, v46
	v_mul_f16_sdwa v48, v14, s13 dst_sel:DWORD dst_unused:UNUSED_PAD src0_sel:WORD_1 src1_sel:DWORD
	v_add_f16_e32 v47, v25, v47
	v_fma_f16 v49, v13, s21, v48
	s_movk_i32 s31, 0x3b7b
	v_add_f16_e32 v47, v49, v47
	v_mul_f16_sdwa v49, v10, s31 dst_sel:DWORD dst_unused:UNUSED_PAD src0_sel:WORD_1 src1_sel:DWORD
	v_fma_f16 v50, v12, s12, v49
	s_movk_i32 s28, 0x3770
	v_add_f16_e32 v47, v50, v47
	v_mul_f16_sdwa v50, v9, s28 dst_sel:DWORD dst_unused:UNUSED_PAD src0_sel:WORD_1 src1_sel:DWORD
	v_fma_f16 v51, v8, s14, v50
	v_add_f16_e32 v47, v51, v47
	v_mul_f16_sdwa v51, v7, s23 dst_sel:DWORD dst_unused:UNUSED_PAD src0_sel:WORD_1 src1_sel:DWORD
	v_fma_f16 v52, v6, s11, v51
	;; [unrolled: 3-line block ×4, first 2 shown]
	v_mul_f16_sdwa v55, v13, s12 dst_sel:DWORD dst_unused:UNUSED_PAD src0_sel:WORD_1 src1_sel:DWORD
	v_add_f16_sdwa v54, v25, v54 dst_sel:DWORD dst_unused:UNUSED_PAD src0_sel:WORD_1 src1_sel:DWORD
	v_fma_f16 v56, v14, s31, v55
	v_add_f16_e32 v54, v56, v54
	v_mul_f16_sdwa v56, v12, s21 dst_sel:DWORD dst_unused:UNUSED_PAD src0_sel:WORD_1 src1_sel:DWORD
	v_fma_f16 v57, v10, s30, v56
	v_add_f16_e32 v54, v57, v54
	v_mul_f16_sdwa v57, v8, s10 dst_sel:DWORD dst_unused:UNUSED_PAD src0_sel:WORD_1 src1_sel:DWORD
	;; [unrolled: 3-line block ×5, first 2 shown]
	v_fma_f16 v61, v28, s11, v60
	v_mul_f16_sdwa v62, v14, s20 dst_sel:DWORD dst_unused:UNUSED_PAD src0_sel:WORD_1 src1_sel:DWORD
	v_add_f16_e32 v61, v25, v61
	v_fma_f16 v63, v13, s12, v62
	v_add_f16_e32 v61, v63, v61
	v_mul_f16_sdwa v63, v10, s13 dst_sel:DWORD dst_unused:UNUSED_PAD src0_sel:WORD_1 src1_sel:DWORD
	v_fma_f16 v64, v12, s21, v63
	v_add_f16_e32 v61, v64, v61
	v_mul_f16_sdwa v64, v9, s29 dst_sel:DWORD dst_unused:UNUSED_PAD src0_sel:WORD_1 src1_sel:DWORD
	;; [unrolled: 3-line block ×4, first 2 shown]
	v_fma_f16 v67, v4, s14, v66
	v_add_f16_e32 v61, v67, v61
	v_pack_b32_f16 v30, v47, v30
	v_pack_b32_f16 v47, v61, v54
	ds_write2_b32 v26, v47, v30 offset0:2 offset1:3
	v_mul_f16_sdwa v30, v28, s10 dst_sel:DWORD dst_unused:UNUSED_PAD src0_sel:WORD_1 src1_sel:DWORD
	v_fma_f16 v47, v27, s29, v30
	v_mul_f16_sdwa v54, v13, s5 dst_sel:DWORD dst_unused:UNUSED_PAD src0_sel:WORD_1 src1_sel:DWORD
	v_add_f16_sdwa v47, v25, v47 dst_sel:DWORD dst_unused:UNUSED_PAD src0_sel:WORD_1 src1_sel:DWORD
	v_fma_f16 v61, v14, s22, v54
	v_add_f16_e32 v47, v61, v47
	v_mul_f16_sdwa v61, v12, s11 dst_sel:DWORD dst_unused:UNUSED_PAD src0_sel:WORD_1 src1_sel:DWORD
	v_fma_f16 v67, v10, s27, v61
	v_add_f16_e32 v47, v67, v47
	v_mul_f16_sdwa v67, v8, s21 dst_sel:DWORD dst_unused:UNUSED_PAD src0_sel:WORD_1 src1_sel:DWORD
	;; [unrolled: 3-line block ×5, first 2 shown]
	v_fma_f16 v71, v28, s10, v70
	v_mul_f16_sdwa v72, v14, s26 dst_sel:DWORD dst_unused:UNUSED_PAD src0_sel:WORD_1 src1_sel:DWORD
	v_add_f16_e32 v71, v25, v71
	v_fma_f16 v73, v13, s5, v72
	v_add_f16_e32 v71, v73, v71
	v_mul_f16_sdwa v73, v10, s23 dst_sel:DWORD dst_unused:UNUSED_PAD src0_sel:WORD_1 src1_sel:DWORD
	v_fma_f16 v74, v12, s11, v73
	v_add_f16_e32 v71, v74, v71
	v_mul_f16_sdwa v74, v9, s30 dst_sel:DWORD dst_unused:UNUSED_PAD src0_sel:WORD_1 src1_sel:DWORD
	;; [unrolled: 3-line block ×5, first 2 shown]
	v_fma_f16 v78, v27, s31, v77
	v_mul_f16_sdwa v79, v13, s10 dst_sel:DWORD dst_unused:UNUSED_PAD src0_sel:WORD_1 src1_sel:DWORD
	v_add_f16_sdwa v78, v25, v78 dst_sel:DWORD dst_unused:UNUSED_PAD src0_sel:WORD_1 src1_sel:DWORD
	v_fma_f16 v80, v14, s15, v79
	v_add_f16_e32 v78, v80, v78
	v_mul_f16_sdwa v80, v12, s14 dst_sel:DWORD dst_unused:UNUSED_PAD src0_sel:WORD_1 src1_sel:DWORD
	v_fma_f16 v81, v10, s25, v80
	v_add_f16_e32 v78, v81, v78
	v_mul_f16_sdwa v81, v8, s5 dst_sel:DWORD dst_unused:UNUSED_PAD src0_sel:WORD_1 src1_sel:DWORD
	;; [unrolled: 3-line block ×5, first 2 shown]
	v_fma_f16 v85, v28, s12, v84
	v_mul_f16_sdwa v86, v14, s29 dst_sel:DWORD dst_unused:UNUSED_PAD src0_sel:WORD_1 src1_sel:DWORD
	v_add_f16_e32 v85, v25, v85
	v_fma_f16 v87, v13, s10, v86
	v_add_f16_e32 v85, v87, v85
	v_mul_f16_sdwa v87, v10, s28 dst_sel:DWORD dst_unused:UNUSED_PAD src0_sel:WORD_1 src1_sel:DWORD
	v_fma_f16 v88, v12, s14, v87
	v_add_f16_e32 v85, v88, v85
	v_mul_f16_sdwa v88, v9, s22 dst_sel:DWORD dst_unused:UNUSED_PAD src0_sel:WORD_1 src1_sel:DWORD
	;; [unrolled: 3-line block ×3, first 2 shown]
	v_fma_f16 v29, v27, s22, v29
	v_fma_f16 v90, v6, s21, v89
	v_add_f16_sdwa v29, v25, v29 dst_sel:DWORD dst_unused:UNUSED_PAD src0_sel:WORD_1 src1_sel:DWORD
	v_fma_f16 v41, v14, s13, v41
	v_add_f16_e32 v85, v90, v85
	v_mul_f16_sdwa v90, v3, s27 dst_sel:DWORD dst_unused:UNUSED_PAD src0_sel:WORD_1 src1_sel:DWORD
	v_add_f16_e32 v29, v41, v29
	v_fma_f16 v41, v10, s31, v42
	v_fma_f16 v91, v4, s11, v90
	v_add_f16_e32 v29, v41, v29
	v_fma_f16 v41, v9, s28, v43
	v_add_f16_e32 v85, v91, v85
	v_add_f16_e32 v29, v41, v29
	v_fma_f16 v41, v7, s23, v44
	v_pack_b32_f16 v47, v71, v47
	v_pack_b32_f16 v71, v85, v78
	v_fma_f16 v30, v27, s15, v30
	v_add_f16_e32 v29, v41, v29
	v_fma_f16 v41, v3, s15, v45
	ds_write2_b32 v26, v71, v47 offset0:4 offset1:5
	v_add_f16_sdwa v30, v25, v30 dst_sel:DWORD dst_unused:UNUSED_PAD src0_sel:WORD_1 src1_sel:DWORD
	v_fma_f16 v47, v14, s26, v54
	v_add_f16_e32 v29, v41, v29
	v_fma_f16 v41, v28, s5, -v46
	v_add_f16_e32 v30, v47, v30
	v_fma_f16 v47, v10, s23, v61
	v_add_f16_e32 v41, v25, v41
	v_fma_f16 v42, v13, s21, -v48
	v_add_f16_e32 v30, v47, v30
	;; [unrolled: 4-line block ×5, first 2 shown]
	v_fma_f16 v47, v28, s10, -v70
	v_add_f16_e32 v41, v42, v41
	v_fma_f16 v42, v4, s10, -v52
	v_add_f16_e32 v47, v25, v47
	;; [unrolled: 2-line block ×3, first 2 shown]
	v_fma_f16 v42, v27, s23, v53
	v_add_f16_e32 v47, v54, v47
	v_fma_f16 v54, v12, s11, -v73
	v_add_f16_sdwa v42, v25, v42 dst_sel:DWORD dst_unused:UNUSED_PAD src0_sel:WORD_1 src1_sel:DWORD
	v_fma_f16 v43, v14, s20, v55
	v_add_f16_e32 v47, v54, v47
	v_fma_f16 v54, v8, s21, -v74
	v_add_f16_e32 v42, v43, v42
	v_fma_f16 v43, v10, s13, v56
	v_add_f16_e32 v47, v54, v47
	v_fma_f16 v54, v6, s14, -v75
	v_add_f16_e32 v42, v43, v42
	;; [unrolled: 4-line block ×3, first 2 shown]
	v_fma_f16 v43, v7, s26, v58
	v_add_f16_e32 v47, v54, v47
	v_fma_f16 v54, v27, s20, v77
	v_add_f16_e32 v42, v43, v42
	v_fma_f16 v43, v3, s28, v59
	v_add_f16_sdwa v54, v25, v54 dst_sel:DWORD dst_unused:UNUSED_PAD src0_sel:WORD_1 src1_sel:DWORD
	v_fma_f16 v61, v14, s29, v79
	v_add_f16_e32 v42, v43, v42
	v_fma_f16 v43, v28, s11, -v60
	v_add_f16_e32 v54, v61, v54
	v_fma_f16 v61, v10, s28, v80
	v_add_f16_e32 v43, v25, v43
	v_fma_f16 v44, v13, s12, -v62
	v_add_f16_e32 v54, v61, v54
	;; [unrolled: 4-line block ×5, first 2 shown]
	v_fma_f16 v61, v28, s12, -v84
	v_add_f16_e32 v43, v44, v43
	v_fma_f16 v44, v4, s14, -v66
	v_pk_mul_f16 v28, v28, s21 op_sel_hi:[1,0]
	v_add_f16_e32 v61, v25, v61
	v_fma_f16 v67, v13, s10, -v86
	v_add_f16_e32 v43, v44, v43
	v_pk_fma_f16 v44, v27, s13, v28 op_sel:[0,0,1] op_sel_hi:[1,0,0]
	v_pk_fma_f16 v27, v27, s13, v28 op_sel:[0,0,1] op_sel_hi:[1,0,0] neg_lo:[1,0,0] neg_hi:[1,0,0]
	v_pk_mul_f16 v13, v13, s14 op_sel_hi:[1,0]
	v_add_f16_e32 v61, v67, v61
	v_fma_f16 v67, v12, s14, -v87
	v_pk_fma_f16 v28, v14, s28, v13 op_sel:[0,0,1] op_sel_hi:[1,0,0]
	v_pk_fma_f16 v13, v14, s28, v13 op_sel:[0,0,1] op_sel_hi:[1,0,0] neg_lo:[1,0,0] neg_hi:[1,0,0]
	v_pk_add_f16 v14, v25, v27 op_sel:[1,0] op_sel_hi:[0,1]
	v_pk_mul_f16 v12, v12, s10 op_sel_hi:[1,0]
	v_add_f16_e32 v61, v67, v61
	v_fma_f16 v67, v8, s5, -v88
	v_pk_add_f16 v13, v13, v14
	v_pk_fma_f16 v14, v10, s15, v12 op_sel:[0,0,1] op_sel_hi:[1,0,0]
	v_pk_fma_f16 v10, v10, s15, v12 op_sel:[0,0,1] op_sel_hi:[1,0,0] neg_lo:[1,0,0] neg_hi:[1,0,0]
	v_pk_mul_f16 v8, v8, s11 op_sel_hi:[1,0]
	v_add_f16_e32 v61, v67, v61
	v_fma_f16 v67, v6, s21, -v89
	v_pk_add_f16 v10, v10, v13
	v_pk_fma_f16 v12, v9, s27, v8 op_sel:[0,0,1] op_sel_hi:[1,0,0]
	v_pk_fma_f16 v8, v9, s27, v8 op_sel:[0,0,1] op_sel_hi:[1,0,0] neg_lo:[1,0,0] neg_hi:[1,0,0]
	;; [unrolled: 6-line block ×3, first 2 shown]
	v_pk_mul_f16 v4, v4, s5 op_sel_hi:[1,0]
	v_pk_add_f16 v6, v6, v8
	v_pk_fma_f16 v7, v3, s26, v4 op_sel:[0,0,1] op_sel_hi:[1,0,0]
	v_pk_fma_f16 v3, v3, s26, v4 op_sel:[0,0,1] op_sel_hi:[1,0,0] neg_lo:[1,0,0] neg_hi:[1,0,0]
	v_alignbit_b32 v4, s0, v25, 16
	v_pk_add_f16 v3, v3, v6
	v_pk_add_f16 v4, v4, v44
	v_alignbit_b32 v6, s0, v44, 16
	v_pk_add_f16 v4, v28, v4
	v_pk_add_f16 v6, v25, v6
	;; [unrolled: 3-line block ×6, first 2 shown]
	v_alignbit_b32 v7, s0, v7, 16
	v_pk_add_f16 v6, v7, v6
	v_add_f16_e32 v61, v67, v61
	v_alignbit_b32 v4, v4, v3, 16
	v_pack_b32_f16 v3, v6, v3
	ds_write2_b32 v26, v3, v4 offset0:6 offset1:7
	v_pack_b32_f16 v3, v61, v54
	v_pack_b32_f16 v4, v47, v30
	ds_write2_b32 v26, v4, v3 offset0:8 offset1:9
	v_pack_b32_f16 v3, v43, v42
	v_pack_b32_f16 v4, v41, v29
	ds_write2_b32 v26, v4, v3 offset0:10 offset1:11
	v_bfi_b32 v3, s24, v5, v11
	v_pk_add_f16 v3, v25, v3
	v_bfi_b32 v4, s24, v31, v32
	v_pk_add_f16 v3, v4, v3
	;; [unrolled: 2-line block ×6, first 2 shown]
	ds_write_b32 v26, v3 offset:48
.LBB0_17:
	s_or_b64 exec, exec, s[6:7]
	v_mul_i32_i24_e32 v3, 7, v23
	v_mov_b32_e32 v4, 0
	v_lshlrev_b64 v[3:4], 2, v[3:4]
	v_mov_b32_e32 v5, s9
	v_add_co_u32_e32 v10, vcc, s8, v3
	v_addc_co_u32_e32 v11, vcc, v5, v4, vcc
	s_waitcnt lgkmcnt(0)
	s_barrier
	global_load_dwordx4 v[3:6], v[10:11], off
	global_load_dwordx3 v[7:9], v[10:11], off offset:16
	ds_read_b32 v14, v24
	ds_read_u16 v26, v0 offset:314
	ds_read_b32 v27, v0 offset:364
	ds_read2_b32 v[10:11], v0 offset0:13 offset1:26
	ds_read2_b32 v[12:13], v0 offset0:39 offset1:52
	;; [unrolled: 1-line block ×3, first 2 shown]
	s_waitcnt lgkmcnt(5)
	v_lshrrev_b32_e32 v34, 16, v14
	s_waitcnt lgkmcnt(3)
	v_lshrrev_b32_e32 v28, 16, v27
	s_waitcnt lgkmcnt(2)
	v_lshrrev_b32_e32 v29, 16, v10
	v_lshrrev_b32_e32 v30, 16, v11
	s_waitcnt lgkmcnt(1)
	v_lshrrev_b32_e32 v31, 16, v12
	v_lshrrev_b32_e32 v32, 16, v13
	s_waitcnt lgkmcnt(0)
	v_lshrrev_b32_e32 v33, 16, v24
	v_add_u32_e32 v22, s4, v22
	v_mul_lo_u32 v23, v22, v23
	v_mul_lo_u32 v22, v22, 13
	s_mov_b32 s5, 0xb9a8
	s_movk_i32 s6, 0x39a8
	s_add_i32 s4, 0, 0x1a00
	s_waitcnt vmcnt(1)
	v_mul_f16_sdwa v35, v3, v29 dst_sel:DWORD dst_unused:UNUSED_PAD src0_sel:WORD_1 src1_sel:DWORD
	v_mul_f16_sdwa v36, v3, v10 dst_sel:DWORD dst_unused:UNUSED_PAD src0_sel:WORD_1 src1_sel:DWORD
	;; [unrolled: 1-line block ×8, first 2 shown]
	s_waitcnt vmcnt(0)
	v_mul_f16_sdwa v43, v7, v33 dst_sel:DWORD dst_unused:UNUSED_PAD src0_sel:WORD_1 src1_sel:DWORD
	v_mul_f16_sdwa v44, v7, v24 dst_sel:DWORD dst_unused:UNUSED_PAD src0_sel:WORD_1 src1_sel:DWORD
	v_mul_f16_sdwa v45, v26, v8 dst_sel:DWORD dst_unused:UNUSED_PAD src0_sel:DWORD src1_sel:WORD_1
	v_mul_f16_sdwa v46, v8, v25 dst_sel:DWORD dst_unused:UNUSED_PAD src0_sel:WORD_1 src1_sel:DWORD
	v_mul_f16_sdwa v47, v28, v9 dst_sel:DWORD dst_unused:UNUSED_PAD src0_sel:DWORD src1_sel:WORD_1
	v_mul_f16_sdwa v48, v27, v9 dst_sel:DWORD dst_unused:UNUSED_PAD src0_sel:DWORD src1_sel:WORD_1
	v_fma_f16 v10, v3, v10, v35
	v_fma_f16 v3, v3, v29, -v36
	v_fma_f16 v11, v4, v11, v37
	v_fma_f16 v4, v4, v30, -v38
	;; [unrolled: 2-line block ×7, first 2 shown]
	v_sub_f16_e32 v13, v14, v13
	v_sub_f16_e32 v6, v34, v6
	;; [unrolled: 1-line block ×8, first 2 shown]
	v_fma_f16 v11, v11, 2.0, -v25
	v_fma_f16 v4, v4, 2.0, -v8
	;; [unrolled: 1-line block ×4, first 2 shown]
	v_add_f16_e32 v8, v13, v8
	v_sub_f16_e32 v25, v6, v25
	v_add_f16_e32 v9, v24, v9
	v_sub_f16_e32 v26, v7, v26
	v_fma_f16 v14, v14, 2.0, -v13
	v_fma_f16 v27, v34, 2.0, -v6
	;; [unrolled: 1-line block ×8, first 2 shown]
	v_fma_f16 v28, v24, s5, v13
	v_fma_f16 v29, v7, s5, v6
	;; [unrolled: 1-line block ×8, first 2 shown]
	v_and_b32_e32 v28, 63, v23
	v_lshrrev_b32_e32 v29, 4, v23
	v_lshrrev_b32_e32 v30, 10, v23
	v_add_u32_e32 v23, v23, v22
	v_and_b32_e32 v31, 63, v23
	v_lshrrev_b32_e32 v32, 4, v23
	v_lshrrev_b32_e32 v33, 10, v23
	v_add_u32_e32 v23, v23, v22
	v_lshrrev_b32_e32 v35, 4, v23
	v_and_b32_e32 v29, 0xfc, v29
	v_and_b32_e32 v30, 0xfc, v30
	;; [unrolled: 1-line block ×6, first 2 shown]
	v_lshl_add_u32 v28, v28, 2, 0
	v_add_u32_e32 v29, s4, v29
	v_add_u32_e32 v30, s4, v30
	v_lshl_add_u32 v31, v31, 2, 0
	v_add_u32_e32 v32, s4, v32
	v_add_u32_e32 v33, s4, v33
	v_lshl_add_u32 v34, v34, 2, 0
	v_add_u32_e32 v35, s4, v35
	ds_read_b32 v28, v28 offset:6656
	ds_read_b32 v29, v29 offset:256
	;; [unrolled: 1-line block ×8, first 2 shown]
	s_waitcnt lgkmcnt(7)
	v_lshrrev_b32_e32 v36, 16, v28
	v_sub_f16_e32 v4, v27, v4
	v_sub_f16_e32 v5, v3, v5
	s_waitcnt lgkmcnt(6)
	v_mul_f16_sdwa v37, v36, v29 dst_sel:DWORD dst_unused:UNUSED_PAD src0_sel:DWORD src1_sel:WORD_1
	v_sub_f16_e32 v11, v14, v11
	v_sub_f16_e32 v12, v10, v12
	v_fma_f16 v27, v27, 2.0, -v4
	v_fma_f16 v3, v3, 2.0, -v5
	v_fma_f16 v37, v28, v29, -v37
	v_mul_f16_sdwa v28, v28, v29 dst_sel:DWORD dst_unused:UNUSED_PAD src0_sel:DWORD src1_sel:WORD_1
	v_fma_f16 v14, v14, 2.0, -v11
	v_fma_f16 v10, v10, 2.0, -v12
	v_sub_f16_e32 v3, v27, v3
	v_fma_f16 v28, v36, v29, v28
	s_waitcnt lgkmcnt(5)
	v_mul_f16_sdwa v36, v37, v30 dst_sel:DWORD dst_unused:UNUSED_PAD src0_sel:DWORD src1_sel:WORD_1
	v_sub_f16_e32 v10, v14, v10
	v_fma_f16 v27, v27, 2.0, -v3
	v_mul_f16_sdwa v29, v28, v30 dst_sel:DWORD dst_unused:UNUSED_PAD src0_sel:DWORD src1_sel:WORD_1
	v_fma_f16 v28, v30, v28, v36
	v_fma_f16 v14, v14, 2.0, -v10
	v_fma_f16 v29, v30, v37, -v29
	v_mul_f16_e32 v30, v27, v28
	v_fma_f16 v30, v14, v29, v30
	v_mul_f16_e32 v14, v14, v28
	v_fma_f16 v14, v27, v29, -v14
	s_waitcnt lgkmcnt(4)
	v_lshrrev_b32_e32 v27, 16, v31
	s_waitcnt lgkmcnt(3)
	v_mul_f16_sdwa v29, v31, v32 dst_sel:DWORD dst_unused:UNUSED_PAD src0_sel:DWORD src1_sel:WORD_1
	v_mul_f16_sdwa v28, v27, v32 dst_sel:DWORD dst_unused:UNUSED_PAD src0_sel:DWORD src1_sel:WORD_1
	v_fma_f16 v27, v27, v32, v29
	v_fma_f16 v28, v31, v32, -v28
	s_waitcnt lgkmcnt(2)
	v_mul_f16_sdwa v29, v27, v33 dst_sel:DWORD dst_unused:UNUSED_PAD src0_sel:DWORD src1_sel:WORD_1
	v_fma_f16 v29, v33, v28, -v29
	v_mul_f16_sdwa v28, v28, v33 dst_sel:DWORD dst_unused:UNUSED_PAD src0_sel:DWORD src1_sel:WORD_1
	v_fma_f16 v6, v6, 2.0, -v24
	v_fma_f16 v27, v33, v27, v28
	v_fma_f16 v13, v13, 2.0, -v7
	v_mul_f16_e32 v28, v6, v27
	v_fma_f16 v28, v13, v29, v28
	v_mul_f16_e32 v13, v13, v27
	v_fma_f16 v6, v6, v29, -v13
	s_waitcnt lgkmcnt(1)
	v_lshrrev_b32_e32 v13, 16, v34
	s_waitcnt lgkmcnt(0)
	v_mul_f16_sdwa v29, v34, v35 dst_sel:DWORD dst_unused:UNUSED_PAD src0_sel:DWORD src1_sel:WORD_1
	v_mul_f16_sdwa v27, v13, v35 dst_sel:DWORD dst_unused:UNUSED_PAD src0_sel:DWORD src1_sel:WORD_1
	v_fma_f16 v13, v13, v35, v29
	v_lshrrev_b32_e32 v29, 10, v23
	v_add_u32_e32 v23, v23, v22
	v_and_b32_e32 v31, 63, v23
	v_lshrrev_b32_e32 v32, 4, v23
	v_lshrrev_b32_e32 v33, 10, v23
	v_add_u32_e32 v23, v23, v22
	v_fma_f16 v27, v34, v35, -v27
	v_and_b32_e32 v34, 63, v23
	v_lshrrev_b32_e32 v35, 4, v23
	v_lshrrev_b32_e32 v36, 10, v23
	v_add_u32_e32 v23, v23, v22
	v_and_b32_e32 v29, 0xfc, v29
	v_and_b32_e32 v32, 0xfc, v32
	;; [unrolled: 1-line block ×6, first 2 shown]
	v_add_u32_e32 v29, s4, v29
	v_lshl_add_u32 v31, v31, 2, 0
	v_add_u32_e32 v32, s4, v32
	v_add_u32_e32 v33, s4, v33
	v_lshl_add_u32 v34, v34, 2, 0
	v_add_u32_e32 v35, s4, v35
	v_add_u32_e32 v36, s4, v36
	v_lshl_add_u32 v37, v37, 2, 0
	ds_read_b32 v29, v29 offset:512
	ds_read_b32 v31, v31 offset:6656
	;; [unrolled: 1-line block ×8, first 2 shown]
	s_waitcnt lgkmcnt(7)
	v_mul_f16_sdwa v38, v13, v29 dst_sel:DWORD dst_unused:UNUSED_PAD src0_sel:DWORD src1_sel:WORD_1
	v_sub_f16_e32 v12, v4, v12
	v_fma_f16 v38, v29, v27, -v38
	v_mul_f16_sdwa v27, v27, v29 dst_sel:DWORD dst_unused:UNUSED_PAD src0_sel:DWORD src1_sel:WORD_1
	v_add_f16_e32 v5, v11, v5
	v_fma_f16 v4, v4, 2.0, -v12
	v_fma_f16 v13, v29, v13, v27
	v_fma_f16 v11, v11, 2.0, -v5
	v_mul_f16_e32 v27, v4, v13
	v_fma_f16 v27, v11, v38, v27
	v_mul_f16_e32 v11, v11, v13
	v_fma_f16 v4, v4, v38, -v11
	s_waitcnt lgkmcnt(6)
	v_lshrrev_b32_e32 v11, 16, v31
	s_waitcnt lgkmcnt(5)
	v_mul_f16_sdwa v29, v31, v32 dst_sel:DWORD dst_unused:UNUSED_PAD src0_sel:DWORD src1_sel:WORD_1
	v_mul_f16_sdwa v13, v11, v32 dst_sel:DWORD dst_unused:UNUSED_PAD src0_sel:DWORD src1_sel:WORD_1
	v_fma_f16 v11, v11, v32, v29
	v_fma_f16 v13, v31, v32, -v13
	s_waitcnt lgkmcnt(4)
	v_mul_f16_sdwa v29, v11, v33 dst_sel:DWORD dst_unused:UNUSED_PAD src0_sel:DWORD src1_sel:WORD_1
	v_fma_f16 v29, v33, v13, -v29
	v_mul_f16_sdwa v13, v13, v33 dst_sel:DWORD dst_unused:UNUSED_PAD src0_sel:DWORD src1_sel:WORD_1
	v_fma_f16 v25, v25, 2.0, -v9
	v_fma_f16 v11, v33, v11, v13
	v_fma_f16 v8, v8, 2.0, -v26
	v_mul_f16_e32 v13, v25, v11
	v_fma_f16 v13, v8, v29, v13
	v_mul_f16_e32 v8, v8, v11
	v_fma_f16 v8, v25, v29, -v8
	s_waitcnt lgkmcnt(3)
	v_lshrrev_b32_e32 v11, 16, v34
	s_waitcnt lgkmcnt(2)
	v_mul_f16_sdwa v29, v34, v35 dst_sel:DWORD dst_unused:UNUSED_PAD src0_sel:DWORD src1_sel:WORD_1
	v_mul_f16_sdwa v25, v11, v35 dst_sel:DWORD dst_unused:UNUSED_PAD src0_sel:DWORD src1_sel:WORD_1
	v_fma_f16 v11, v11, v35, v29
	v_fma_f16 v25, v34, v35, -v25
	s_waitcnt lgkmcnt(1)
	v_mul_f16_sdwa v29, v11, v36 dst_sel:DWORD dst_unused:UNUSED_PAD src0_sel:DWORD src1_sel:WORD_1
	v_fma_f16 v29, v36, v25, -v29
	v_mul_f16_sdwa v25, v25, v36 dst_sel:DWORD dst_unused:UNUSED_PAD src0_sel:DWORD src1_sel:WORD_1
	v_fma_f16 v11, v36, v11, v25
	v_mul_f16_e32 v25, v3, v11
	v_fma_f16 v25, v10, v29, v25
	v_mul_f16_e32 v10, v10, v11
	v_fma_f16 v3, v3, v29, -v10
	v_lshrrev_b32_e32 v11, 4, v23
	v_lshrrev_b32_e32 v29, 10, v23
	v_add_u32_e32 v23, v23, v22
	v_add_u32_e32 v22, v23, v22
	v_and_b32_e32 v31, 63, v23
	v_lshrrev_b32_e32 v32, 4, v23
	v_lshrrev_b32_e32 v33, 10, v23
	v_and_b32_e32 v23, 63, v22
	v_lshrrev_b32_e32 v34, 4, v22
	v_lshrrev_b32_e32 v22, 10, v22
	v_and_b32_e32 v11, 0xfc, v11
	v_and_b32_e32 v29, 0xfc, v29
	;; [unrolled: 1-line block ×6, first 2 shown]
	v_add_u32_e32 v11, s4, v11
	v_add_u32_e32 v29, s4, v29
	v_lshl_add_u32 v31, v31, 2, 0
	v_add_u32_e32 v32, s4, v32
	v_add_u32_e32 v33, s4, v33
	v_lshl_add_u32 v23, v23, 2, 0
	v_add_u32_e32 v34, s4, v34
	v_add_u32_e32 v22, s4, v22
	s_waitcnt lgkmcnt(0)
	v_lshrrev_b32_e32 v10, 16, v37
	ds_read_b32 v11, v11 offset:256
	ds_read_b32 v29, v29 offset:512
	;; [unrolled: 1-line block ×8, first 2 shown]
	s_waitcnt lgkmcnt(7)
	v_mul_f16_sdwa v36, v37, v11 dst_sel:DWORD dst_unused:UNUSED_PAD src0_sel:DWORD src1_sel:WORD_1
	v_mul_f16_sdwa v35, v10, v11 dst_sel:DWORD dst_unused:UNUSED_PAD src0_sel:DWORD src1_sel:WORD_1
	v_fma_f16 v10, v10, v11, v36
	v_fma_f16 v35, v37, v11, -v35
	s_waitcnt lgkmcnt(6)
	v_mul_f16_sdwa v11, v10, v29 dst_sel:DWORD dst_unused:UNUSED_PAD src0_sel:DWORD src1_sel:WORD_1
	v_fma_f16 v11, v29, v35, -v11
	v_mul_f16_sdwa v35, v35, v29 dst_sel:DWORD dst_unused:UNUSED_PAD src0_sel:DWORD src1_sel:WORD_1
	v_fma_f16 v10, v29, v10, v35
	v_mul_f16_e32 v29, v24, v10
	v_fma_f16 v29, v7, v11, v29
	v_mul_f16_e32 v7, v7, v10
	v_fma_f16 v7, v24, v11, -v7
	s_waitcnt lgkmcnt(5)
	v_lshrrev_b32_e32 v10, 16, v31
	s_waitcnt lgkmcnt(4)
	v_mul_f16_sdwa v24, v31, v32 dst_sel:DWORD dst_unused:UNUSED_PAD src0_sel:DWORD src1_sel:WORD_1
	v_mul_f16_sdwa v11, v10, v32 dst_sel:DWORD dst_unused:UNUSED_PAD src0_sel:DWORD src1_sel:WORD_1
	v_fma_f16 v10, v10, v32, v24
	v_fma_f16 v11, v31, v32, -v11
	s_waitcnt lgkmcnt(3)
	v_mul_f16_sdwa v24, v10, v33 dst_sel:DWORD dst_unused:UNUSED_PAD src0_sel:DWORD src1_sel:WORD_1
	v_fma_f16 v24, v33, v11, -v24
	v_mul_f16_sdwa v11, v11, v33 dst_sel:DWORD dst_unused:UNUSED_PAD src0_sel:DWORD src1_sel:WORD_1
	v_fma_f16 v10, v33, v10, v11
	v_mul_f16_e32 v11, v12, v10
	v_fma_f16 v11, v5, v24, v11
	v_mul_f16_e32 v5, v5, v10
	s_waitcnt lgkmcnt(2)
	v_lshrrev_b32_e32 v10, 16, v23
	v_fma_f16 v5, v12, v24, -v5
	s_waitcnt lgkmcnt(1)
	v_mul_f16_sdwa v12, v10, v34 dst_sel:DWORD dst_unused:UNUSED_PAD src0_sel:DWORD src1_sel:WORD_1
	v_fma_f16 v12, v23, v34, -v12
	v_mul_f16_sdwa v23, v23, v34 dst_sel:DWORD dst_unused:UNUSED_PAD src0_sel:DWORD src1_sel:WORD_1
	v_fma_f16 v10, v10, v34, v23
	s_waitcnt lgkmcnt(0)
	v_mul_f16_sdwa v23, v10, v22 dst_sel:DWORD dst_unused:UNUSED_PAD src0_sel:DWORD src1_sel:WORD_1
	v_fma_f16 v23, v22, v12, -v23
	v_mul_f16_sdwa v12, v12, v22 dst_sel:DWORD dst_unused:UNUSED_PAD src0_sel:DWORD src1_sel:WORD_1
	v_fma_f16 v10, v22, v10, v12
	v_mul_f16_e32 v12, v9, v10
	v_mul_f16_e32 v10, v26, v10
	v_fma_f16 v9, v9, v23, -v10
	v_pack_b32_f16 v10, v30, v14
	v_pack_b32_f16 v6, v28, v6
	s_barrier
	ds_write2_b32 v0, v10, v6 offset1:13
	v_pack_b32_f16 v4, v27, v4
	v_pack_b32_f16 v6, v13, v8
	v_fma_f16 v12, v26, v23, v12
	ds_write2_b32 v0, v4, v6 offset0:26 offset1:39
	v_pack_b32_f16 v3, v25, v3
	v_pack_b32_f16 v4, v29, v7
	ds_write2_b32 v0, v3, v4 offset0:52 offset1:65
	v_pack_b32_f16 v3, v11, v5
	v_pack_b32_f16 v4, v12, v9
	ds_write2_b32 v0, v3, v4 offset0:78 offset1:91
	s_waitcnt lgkmcnt(0)
	s_barrier
	s_and_saveexec_b64 s[4:5], s[0:1]
	s_cbranch_execz .LBB0_19
; %bb.18:
	v_mad_u64_u32 v[3:4], s[0:1], s18, v20, 0
	v_mad_u64_u32 v[5:6], s[0:1], s16, v15, 0
	v_mov_b32_e32 v0, v4
	v_mad_u64_u32 v[7:8], s[0:1], s19, v20, v[0:1]
	v_mov_b32_e32 v0, v6
	v_mad_u64_u32 v[8:9], s[0:1], s17, v15, v[0:1]
	v_mul_u32_u24_e32 v0, 0x1a0, v20
	v_mov_b32_e32 v4, v7
	v_mov_b32_e32 v6, v8
	v_add3_u32 v8, 0, v0, v21
	v_mov_b32_e32 v0, s3
	v_add_co_u32_e32 v7, vcc, s2, v1
	v_addc_co_u32_e32 v9, vcc, v0, v2, vcc
	v_lshlrev_b64 v[0:1], 2, v[3:4]
	v_mad_u64_u32 v[2:3], s[0:1], s16, v19, 0
	v_add_co_u32_e32 v10, vcc, v7, v0
	v_addc_co_u32_e32 v11, vcc, v9, v1, vcc
	v_lshlrev_b64 v[0:1], 2, v[5:6]
	ds_read2_b32 v[4:5], v8 offset1:13
	v_add_co_u32_e32 v0, vcc, v10, v0
	v_addc_co_u32_e32 v1, vcc, v11, v1, vcc
	s_waitcnt lgkmcnt(0)
	v_mad_u64_u32 v[6:7], s[0:1], s17, v19, v[3:4]
	global_store_dword v[0:1], v4, off
	v_add_u32_e32 v9, 0x5b, v15
	v_mov_b32_e32 v3, v6
	v_lshlrev_b64 v[0:1], 2, v[2:3]
	v_mad_u64_u32 v[2:3], s[0:1], s16, v18, 0
	v_add_co_u32_e32 v0, vcc, v10, v0
	v_mad_u64_u32 v[3:4], s[0:1], s17, v18, v[3:4]
	v_addc_co_u32_e32 v1, vcc, v11, v1, vcc
	global_store_dword v[0:1], v5, off
	v_mad_u64_u32 v[0:1], s[0:1], s16, v17, 0
	v_lshlrev_b64 v[2:3], 2, v[2:3]
	ds_read2_b32 v[4:5], v8 offset0:26 offset1:39
	v_mad_u64_u32 v[6:7], s[0:1], s17, v17, v[1:2]
	v_add_co_u32_e32 v1, vcc, v10, v2
	v_addc_co_u32_e32 v2, vcc, v11, v3, vcc
	s_waitcnt lgkmcnt(0)
	global_store_dword v[1:2], v4, off
	v_mov_b32_e32 v1, v6
	v_lshlrev_b64 v[0:1], 2, v[0:1]
	v_mad_u64_u32 v[2:3], s[0:1], s16, v16, 0
	v_add_co_u32_e32 v0, vcc, v10, v0
	v_addc_co_u32_e32 v1, vcc, v11, v1, vcc
	global_store_dword v[0:1], v5, off
	v_mov_b32_e32 v0, v3
	v_mad_u64_u32 v[0:1], s[0:1], s17, v16, v[0:1]
	v_add_u32_e32 v6, 0x41, v15
	v_mad_u64_u32 v[4:5], s[0:1], s16, v6, 0
	v_mov_b32_e32 v3, v0
	ds_read2_b32 v[0:1], v8 offset0:52 offset1:65
	v_lshlrev_b64 v[2:3], 2, v[2:3]
	v_mad_u64_u32 v[5:6], s[0:1], s17, v6, v[5:6]
	v_add_co_u32_e32 v2, vcc, v10, v2
	v_addc_co_u32_e32 v3, vcc, v11, v3, vcc
	v_add_u32_e32 v6, 0x4e, v15
	s_waitcnt lgkmcnt(0)
	global_store_dword v[2:3], v0, off
	v_lshlrev_b64 v[2:3], 2, v[4:5]
	v_mad_u64_u32 v[4:5], s[0:1], s16, v6, 0
	v_add_co_u32_e32 v2, vcc, v10, v2
	v_addc_co_u32_e32 v3, vcc, v11, v3, vcc
	v_mov_b32_e32 v0, v5
	global_store_dword v[2:3], v1, off
	v_mad_u64_u32 v[0:1], s[0:1], s17, v6, v[0:1]
	v_mad_u64_u32 v[1:2], s[0:1], s16, v9, 0
	v_mov_b32_e32 v5, v0
	ds_read2_b32 v[6:7], v8 offset0:78 offset1:91
	v_mov_b32_e32 v0, v2
	v_lshlrev_b64 v[3:4], 2, v[4:5]
	v_mad_u64_u32 v[8:9], s[0:1], s17, v9, v[0:1]
	v_add_co_u32_e32 v2, vcc, v10, v3
	v_addc_co_u32_e32 v3, vcc, v11, v4, vcc
	s_waitcnt lgkmcnt(0)
	global_store_dword v[2:3], v6, off
	v_mov_b32_e32 v2, v8
	v_lshlrev_b64 v[0:1], 2, v[1:2]
	v_add_co_u32_e32 v0, vcc, v10, v0
	v_addc_co_u32_e32 v1, vcc, v11, v1, vcc
	global_store_dword v[0:1], v7, off
.LBB0_19:
	s_endpgm
	.section	.rodata,"a",@progbits
	.p2align	6, 0x0
	.amdhsa_kernel fft_rtc_back_len104_factors_13_8_wgs_208_tpt_13_half_ip_CI_sbcc_twdbase6_3step
		.amdhsa_group_segment_fixed_size 0
		.amdhsa_private_segment_fixed_size 0
		.amdhsa_kernarg_size 96
		.amdhsa_user_sgpr_count 6
		.amdhsa_user_sgpr_private_segment_buffer 1
		.amdhsa_user_sgpr_dispatch_ptr 0
		.amdhsa_user_sgpr_queue_ptr 0
		.amdhsa_user_sgpr_kernarg_segment_ptr 1
		.amdhsa_user_sgpr_dispatch_id 0
		.amdhsa_user_sgpr_flat_scratch_init 0
		.amdhsa_user_sgpr_private_segment_size 0
		.amdhsa_uses_dynamic_stack 0
		.amdhsa_system_sgpr_private_segment_wavefront_offset 0
		.amdhsa_system_sgpr_workgroup_id_x 1
		.amdhsa_system_sgpr_workgroup_id_y 0
		.amdhsa_system_sgpr_workgroup_id_z 0
		.amdhsa_system_sgpr_workgroup_info 0
		.amdhsa_system_vgpr_workitem_id 0
		.amdhsa_next_free_vgpr 92
		.amdhsa_next_free_sgpr 41
		.amdhsa_reserve_vcc 1
		.amdhsa_reserve_flat_scratch 0
		.amdhsa_float_round_mode_32 0
		.amdhsa_float_round_mode_16_64 0
		.amdhsa_float_denorm_mode_32 3
		.amdhsa_float_denorm_mode_16_64 3
		.amdhsa_dx10_clamp 1
		.amdhsa_ieee_mode 1
		.amdhsa_fp16_overflow 0
		.amdhsa_exception_fp_ieee_invalid_op 0
		.amdhsa_exception_fp_denorm_src 0
		.amdhsa_exception_fp_ieee_div_zero 0
		.amdhsa_exception_fp_ieee_overflow 0
		.amdhsa_exception_fp_ieee_underflow 0
		.amdhsa_exception_fp_ieee_inexact 0
		.amdhsa_exception_int_div_zero 0
	.end_amdhsa_kernel
	.text
.Lfunc_end0:
	.size	fft_rtc_back_len104_factors_13_8_wgs_208_tpt_13_half_ip_CI_sbcc_twdbase6_3step, .Lfunc_end0-fft_rtc_back_len104_factors_13_8_wgs_208_tpt_13_half_ip_CI_sbcc_twdbase6_3step
                                        ; -- End function
	.section	.AMDGPU.csdata,"",@progbits
; Kernel info:
; codeLenInByte = 7508
; NumSgprs: 45
; NumVgprs: 92
; ScratchSize: 0
; MemoryBound: 0
; FloatMode: 240
; IeeeMode: 1
; LDSByteSize: 0 bytes/workgroup (compile time only)
; SGPRBlocks: 5
; VGPRBlocks: 22
; NumSGPRsForWavesPerEU: 45
; NumVGPRsForWavesPerEU: 92
; Occupancy: 2
; WaveLimiterHint : 1
; COMPUTE_PGM_RSRC2:SCRATCH_EN: 0
; COMPUTE_PGM_RSRC2:USER_SGPR: 6
; COMPUTE_PGM_RSRC2:TRAP_HANDLER: 0
; COMPUTE_PGM_RSRC2:TGID_X_EN: 1
; COMPUTE_PGM_RSRC2:TGID_Y_EN: 0
; COMPUTE_PGM_RSRC2:TGID_Z_EN: 0
; COMPUTE_PGM_RSRC2:TIDIG_COMP_CNT: 0
	.type	__hip_cuid_9362ed395739afdb,@object ; @__hip_cuid_9362ed395739afdb
	.section	.bss,"aw",@nobits
	.globl	__hip_cuid_9362ed395739afdb
__hip_cuid_9362ed395739afdb:
	.byte	0                               ; 0x0
	.size	__hip_cuid_9362ed395739afdb, 1

	.ident	"AMD clang version 19.0.0git (https://github.com/RadeonOpenCompute/llvm-project roc-6.4.0 25133 c7fe45cf4b819c5991fe208aaa96edf142730f1d)"
	.section	".note.GNU-stack","",@progbits
	.addrsig
	.addrsig_sym __hip_cuid_9362ed395739afdb
	.amdgpu_metadata
---
amdhsa.kernels:
  - .args:
      - .actual_access:  read_only
        .address_space:  global
        .offset:         0
        .size:           8
        .value_kind:     global_buffer
      - .address_space:  global
        .offset:         8
        .size:           8
        .value_kind:     global_buffer
      - .offset:         16
        .size:           8
        .value_kind:     by_value
      - .actual_access:  read_only
        .address_space:  global
        .offset:         24
        .size:           8
        .value_kind:     global_buffer
      - .actual_access:  read_only
        .address_space:  global
        .offset:         32
        .size:           8
        .value_kind:     global_buffer
      - .offset:         40
        .size:           8
        .value_kind:     by_value
      - .actual_access:  read_only
        .address_space:  global
        .offset:         48
        .size:           8
        .value_kind:     global_buffer
      - .actual_access:  read_only
        .address_space:  global
        .offset:         56
        .size:           8
        .value_kind:     global_buffer
      - .offset:         64
        .size:           4
        .value_kind:     by_value
      - .actual_access:  read_only
        .address_space:  global
        .offset:         72
        .size:           8
        .value_kind:     global_buffer
      - .actual_access:  read_only
        .address_space:  global
        .offset:         80
        .size:           8
        .value_kind:     global_buffer
      - .address_space:  global
        .offset:         88
        .size:           8
        .value_kind:     global_buffer
    .group_segment_fixed_size: 0
    .kernarg_segment_align: 8
    .kernarg_segment_size: 96
    .language:       OpenCL C
    .language_version:
      - 2
      - 0
    .max_flat_workgroup_size: 208
    .name:           fft_rtc_back_len104_factors_13_8_wgs_208_tpt_13_half_ip_CI_sbcc_twdbase6_3step
    .private_segment_fixed_size: 0
    .sgpr_count:     45
    .sgpr_spill_count: 0
    .symbol:         fft_rtc_back_len104_factors_13_8_wgs_208_tpt_13_half_ip_CI_sbcc_twdbase6_3step.kd
    .uniform_work_group_size: 1
    .uses_dynamic_stack: false
    .vgpr_count:     92
    .vgpr_spill_count: 0
    .wavefront_size: 64
amdhsa.target:   amdgcn-amd-amdhsa--gfx906
amdhsa.version:
  - 1
  - 2
...

	.end_amdgpu_metadata
